;; amdgpu-corpus repo=triton-lang/triton kind=triton arch=gfx950 opt=O3 lang=triton
	.amdgcn_target "amdgcn-amd-amdhsa--gfx950"
	.amdhsa_code_object_version 5
	.text
	.globl	online_softmax_kernel           ; -- Begin function online_softmax_kernel
	.p2align	8
	.type	online_softmax_kernel,@function
online_softmax_kernel:                  ; @online_softmax_kernel
.Lfunc_begin0:
	.cfi_sections .debug_frame
	.cfi_startproc
; %bb.42:
	.file	1 "/root/src/amdgpu-assembly/repos/triton-lang__triton-aot" "softmax_online.py"
	.loc	1 8 0 prologue_end              ; softmax_online.py:8:0
	s_load_dwordx2 s[2:3], s[0:1], 0x0
	s_load_dwordx8 s[4:11], s[0:1], 0x8
	s_waitcnt lgkmcnt(0)
	s_branch .LBB0_0
	.loc	1 0 0 is_stmt 0                 ; :0:0
.Ltmp0:
	.p2align	8
; %bb.43:
.LBB0_0:
.Ltmp1:
	.loc	1 15 32 is_stmt 1               ; softmax_online.py:15:32
	s_cmp_lt_i32 s7, 1
.Ltmp2:
	.file	2 "/root/.local/lib/python3.13/site-packages/triton/language" "standard.py"
	.loc	2 293 36                        ; standard.py:293:36 @[ softmax_online.py:20:43 ]
	v_readfirstlane_b32 s0, v0
.Ltmp3:
	.loc	1 15 32                         ; softmax_online.py:15:32
	s_cbranch_scc1 .LBB0_41
; %bb.1:                                ; %.lr.ph
	.loc	1 11 23                         ; softmax_online.py:11:23
	s_mul_i32 s8, s6, s12
	.loc	1 11 17 is_stmt 0               ; softmax_online.py:11:17
	s_ashr_i32 s9, s8, 31
	s_lshl_b64 s[12:13], s[8:9], 1
	s_add_u32 s10, s4, s12
	s_addc_u32 s11, s5, s13
	.loc	1 16 34 is_stmt 1               ; softmax_online.py:16:34
	s_and_b32 s1, s0, 0xc0
	s_lshr_b32 s0, s0, 4
	v_and_b32_e32 v1, 63, v0
	s_and_b32 s0, s0, 12
	v_or_b32_e32 v2, s1, v1
	s_add_i32 s6, s0, 0
	v_cmp_gt_u32_e64 s[0:1], 4, v0
	v_lshl_add_u32 v6, v0, 2, 0
	v_and_b32_e32 v0, 3, v0
	v_cmp_eq_u32_e64 s[4:5], 0, v0
	v_mov_b32_e32 v3, 0
	s_mov_b32 s14, 0
	v_cmp_eq_u32_e32 vcc, 0, v1
	s_and_b64 s[16:17], s[0:1], s[4:5]
	v_mov_b32_e32 v11, 0xff800000
	s_mov_b32 s18, 0xc2fc0000
	v_mov_b32_e32 v7, 0x42800000
	v_not_b32_e32 v9, 63
	v_mov_b32_e32 v10, v3
	s_branch .LBB0_3
.LBB0_2:                                ;   in Loop: Header=BB0_3 Depth=1
	.loc	1 0 34 is_stmt 0                ; softmax_online.py:0:34
	s_or_b64 exec, exec, s[4:5]
	.loc	1 20 27 is_stmt 1               ; softmax_online.py:20:27
	v_sub_f32_e32 v0, v11, v8
	.loc	1 20 23 is_stmt 0               ; softmax_online.py:20:23
	v_mul_f32_e32 v1, 0x3fb8aa3b, v0
	v_cmp_gt_f32_e64 s[4:5], s18, v1
.Ltmp4:
	.loc	2 293 36 is_stmt 1              ; standard.py:293:36 @[ softmax_online.py:20:43 ]
	s_waitcnt lgkmcnt(0)
	s_barrier
.Ltmp5:
	.loc	1 20 23                         ; softmax_online.py:20:23
	v_cndmask_b32_e64 v1, 0, v7, s[4:5]
	v_fmac_f32_e32 v1, 0x3fb8aa3b, v0
	v_exp_f32_e32 v0, v1
.Ltmp6:
	.loc	2 293 36                        ; standard.py:293:36 @[ softmax_online.py:20:43 ]
	ds_read_b32 v12, v3
.Ltmp7:
	.loc	1 20 23                         ; softmax_online.py:20:23
	s_and_b64 s[4:5], s[4:5], exec
	s_cselect_b32 s4, 0xffffffc0, 0
	v_ldexp_f32 v0, v0, s4
	.loc	1 15 32                         ; softmax_online.py:15:32
	s_addk_i32 s14, 0x400
	.loc	1 20 36                         ; softmax_online.py:20:36
	s_waitcnt lgkmcnt(0)
	v_fmac_f32_e32 v12, v10, v0
	.loc	1 15 32                         ; softmax_online.py:15:32
	s_cmp_lt_i32 s14, s7
	v_mov_b32_e32 v10, v12
	v_mov_b32_e32 v11, v8
	s_cbranch_scc0 .LBB0_23
.LBB0_3:                                ; =>This Inner Loop Header: Depth=1
	.loc	1 16 21                         ; softmax_online.py:16:21
	v_add_u32_e32 v0, s14, v2
	.loc	1 17 20                         ; softmax_online.py:17:20
	v_mov_b32_e32 v8, 0xfc00
	.loc	1 17 50 is_stmt 0               ; softmax_online.py:17:50
	v_cmp_gt_i32_e64 s[4:5], s7, v0
	v_mov_b32_e32 v1, v8
	.loc	1 17 20                         ; softmax_online.py:17:20
	s_and_saveexec_b64 s[8:9], s[4:5]
	s_cbranch_execz .LBB0_5
; %bb.4:                                ;   in Loop: Header=BB0_3 Depth=1
	.loc	1 0 20                          ; softmax_online.py:0:20
	v_ashrrev_i32_e32 v1, 31, v0
	v_lshl_add_u64 v[4:5], v[0:1], 1, s[10:11]
	.loc	1 17 20                         ; softmax_online.py:17:20
	global_load_ushort v1, v[4:5], off
.LBB0_5:                                ;   in Loop: Header=BB0_3 Depth=1
	.loc	1 0 20                          ; softmax_online.py:0:20
	s_or_b64 exec, exec, s[8:9]
	.loc	1 16 21 is_stmt 1               ; softmax_online.py:16:21
	v_add_u32_e32 v4, 0x100, v0
	.loc	1 17 32                         ; softmax_online.py:17:32
	s_ashr_i32 s15, s14, 31
	.loc	1 17 50 is_stmt 0               ; softmax_online.py:17:50
	v_cmp_gt_i32_e64 s[4:5], s7, v4
	v_lshl_add_u64 v[4:5], s[14:15], 0, v[2:3]
	.loc	1 17 32                         ; softmax_online.py:17:32
	v_lshl_add_u64 v[4:5], v[4:5], 1, s[10:11]
	.loc	1 17 20                         ; softmax_online.py:17:20
	s_and_saveexec_b64 s[8:9], s[4:5]
	s_cbranch_execz .LBB0_7
; %bb.6:                                ;   in Loop: Header=BB0_3 Depth=1
	global_load_ushort v8, v[4:5], off offset:512
.LBB0_7:                                ;   in Loop: Header=BB0_3 Depth=1
	.loc	1 0 20                          ; softmax_online.py:0:20
	s_or_b64 exec, exec, s[8:9]
	.loc	1 16 21 is_stmt 1               ; softmax_online.py:16:21
	v_add_u32_e32 v12, 0x200, v0
	.loc	1 17 50                         ; softmax_online.py:17:50
	v_cmp_gt_i32_e64 s[4:5], s7, v12
	.loc	1 17 20 is_stmt 0               ; softmax_online.py:17:20
	v_mov_b32_e32 v12, 0xfc00
	v_mov_b32_e32 v13, v12
	s_and_saveexec_b64 s[8:9], s[4:5]
	s_cbranch_execz .LBB0_9
; %bb.8:                                ;   in Loop: Header=BB0_3 Depth=1
	global_load_ushort v13, v[4:5], off offset:1024
.LBB0_9:                                ;   in Loop: Header=BB0_3 Depth=1
	.loc	1 0 20                          ; softmax_online.py:0:20
	s_or_b64 exec, exec, s[8:9]
	.loc	1 17 50                         ; softmax_online.py:17:50
	v_add_u32_e32 v0, 0x300, v0
	v_cmp_gt_i32_e64 s[4:5], s7, v0
	.loc	1 17 20                         ; softmax_online.py:17:20
	s_and_saveexec_b64 s[8:9], s[4:5]
	s_cbranch_execz .LBB0_11
; %bb.10:                               ;   in Loop: Header=BB0_3 Depth=1
	global_load_ushort v12, v[4:5], off offset:1536
.LBB0_11:                               ;   in Loop: Header=BB0_3 Depth=1
	.loc	1 0 20                          ; softmax_online.py:0:20
	s_or_b64 exec, exec, s[8:9]
.Ltmp8:
	.loc	2 187 33 is_stmt 1              ; standard.py:187:33 @[ softmax_online.py:18:27 ]
	s_waitcnt vmcnt(0)
	v_cvt_f32_f16_e32 v0, v1
	v_cvt_f32_f16_e32 v1, v8
	;; [unrolled: 1-line block ×4, first 2 shown]
	.loc	2 191 40                        ; standard.py:191:40 @[ softmax_online.py:18:27 ]
	s_waitcnt lgkmcnt(0)
.Ltmp9:
	.loc	2 170 27                        ; standard.py:170:27 @[ standard.py:191:40 @[ softmax_online.py:18:27 ] ]
	v_max_f32_e32 v8, v0, v1
.Ltmp10:
	.loc	2 191 40                        ; standard.py:191:40 @[ softmax_online.py:18:27 ]
	s_barrier
.Ltmp11:
	.loc	2 170 27                        ; standard.py:170:27 @[ standard.py:191:40 @[ softmax_online.py:18:27 ] ]
	v_max3_f32 v8, v8, v4, v5
.Ltmp12:
	.loc	2 191 40                        ; standard.py:191:40 @[ softmax_online.py:18:27 ]
	s_nop 1
	v_mov_b32_dpp v12, v8 row_shr:8 row_mask:0xf bank_mask:0xf bound_ctrl:1
.Ltmp13:
	.loc	2 170 27                        ; standard.py:170:27 @[ standard.py:191:40 @[ softmax_online.py:18:27 ] ]
	v_max_f32_e32 v12, v12, v12
	v_max_f32_e32 v8, v8, v12
.Ltmp14:
	.loc	2 191 40                        ; standard.py:191:40 @[ softmax_online.py:18:27 ]
	s_nop 1
	v_mov_b32_dpp v12, v8 row_shr:4 row_mask:0xf bank_mask:0xf bound_ctrl:1
.Ltmp15:
	.loc	2 170 27                        ; standard.py:170:27 @[ standard.py:191:40 @[ softmax_online.py:18:27 ] ]
	v_max_f32_e32 v12, v12, v12
	v_max_f32_e32 v8, v8, v12
.Ltmp16:
	.loc	2 191 40                        ; standard.py:191:40 @[ softmax_online.py:18:27 ]
	s_nop 1
	v_mov_b32_dpp v12, v8 row_shr:2 row_mask:0xf bank_mask:0xf bound_ctrl:1
.Ltmp17:
	.loc	2 170 27                        ; standard.py:170:27 @[ standard.py:191:40 @[ softmax_online.py:18:27 ] ]
	v_max_f32_e32 v12, v12, v12
	v_max_f32_e32 v8, v8, v12
.Ltmp18:
	.loc	2 191 40                        ; standard.py:191:40 @[ softmax_online.py:18:27 ]
	s_nop 1
	v_mov_b32_dpp v12, v8 row_shr:1 row_mask:0xf bank_mask:0xf bound_ctrl:1
.Ltmp19:
	.loc	2 170 27                        ; standard.py:170:27 @[ standard.py:191:40 @[ softmax_online.py:18:27 ] ]
	v_max_f32_e32 v12, v12, v12
	v_max_f32_e32 v8, v8, v12
.Ltmp20:
	.loc	2 191 40                        ; standard.py:191:40 @[ softmax_online.py:18:27 ]
	v_mov_b32_e32 v12, v8
	s_nop 1
	v_mov_b32_dpp v12, v12 row_bcast:15 row_mask:0xa bank_mask:0xf bound_ctrl:1
.Ltmp21:
	.loc	2 170 27                        ; standard.py:170:27 @[ standard.py:191:40 @[ softmax_online.py:18:27 ] ]
	v_max_f32_e32 v12, v12, v12
	v_max_f32_e32 v8, v8, v12
.Ltmp22:
	.loc	2 191 40                        ; standard.py:191:40 @[ softmax_online.py:18:27 ]
	s_nop 1
	v_mov_b32_dpp v12, v8 row_bcast:31 row_mask:0xf bank_mask:0xf bound_ctrl:1
.Ltmp23:
	.loc	2 170 27                        ; standard.py:170:27 @[ standard.py:191:40 @[ softmax_online.py:18:27 ] ]
	v_max_f32_e32 v12, v12, v12
	v_max_f32_e32 v8, v8, v12
.Ltmp24:
	.loc	2 191 40                        ; standard.py:191:40 @[ softmax_online.py:18:27 ]
	s_nop 0
	v_readlane_b32 s8, v8, 63
	s_and_saveexec_b64 s[4:5], vcc
; %bb.12:                               ;   in Loop: Header=BB0_3 Depth=1
	v_mov_b32_e32 v8, s6
	v_mov_b32_e32 v12, s8
	ds_write_b32 v8, v12
.Ltmp25:
; %bb.13:                               ;   in Loop: Header=BB0_3 Depth=1
	.loc	2 0 40 is_stmt 0                ; standard.py:0:40
	s_or_b64 exec, exec, s[4:5]
	.loc	1 18 27 is_stmt 1               ; softmax_online.py:18:27
	v_mov_b32_e32 v8, 0
.Ltmp26:
	.loc	2 191 40                        ; standard.py:191:40 @[ softmax_online.py:18:27 ]
	s_waitcnt lgkmcnt(0)
	s_barrier
	s_and_saveexec_b64 s[4:5], s[0:1]
; %bb.14:                               ;   in Loop: Header=BB0_3 Depth=1
	ds_read_b32 v8, v6
; %bb.15:                               ;   in Loop: Header=BB0_3 Depth=1
	.loc	2 0 40 is_stmt 0                ; standard.py:0:40
	s_or_b64 exec, exec, s[4:5]
.Ltmp27:
	.loc	2 170 27 is_stmt 1              ; standard.py:170:27 @[ standard.py:191:40 @[ softmax_online.py:18:27 ] ]
	s_waitcnt lgkmcnt(0)
	v_max_f32_e32 v12, v8, v8
.Ltmp28:
	.loc	2 191 40                        ; standard.py:191:40 @[ softmax_online.py:18:27 ]
	v_mov_b32_dpp v8, v8 quad_perm:[2,3,0,1] row_mask:0xf bank_mask:0xf
.Ltmp29:
	.loc	2 170 27                        ; standard.py:170:27 @[ standard.py:191:40 @[ softmax_online.py:18:27 ] ]
	v_max_f32_e32 v8, v8, v8
	v_max_f32_e32 v8, v12, v8
.Ltmp30:
	.loc	2 191 40                        ; standard.py:191:40 @[ softmax_online.py:18:27 ]
	v_mov_b32_e32 v12, v8
	s_nop 1
	v_mov_b32_dpp v12, v12 quad_perm:[1,0,3,2] row_mask:0xf bank_mask:0xf
	s_and_saveexec_b64 s[4:5], s[16:17]
; %bb.16:                               ;   in Loop: Header=BB0_3 Depth=1
	.loc	2 0 40 is_stmt 0                ; standard.py:0:40
	v_max_f32_e32 v12, v12, v12
	v_max_f32_e32 v8, v8, v8
	;; [unrolled: 1-line block ×3, first 2 shown]
	.loc	2 191 40                        ; standard.py:191:40 @[ softmax_online.py:18:27 ]
	ds_write_b32 v6, v8
; %bb.17:                               ;   in Loop: Header=BB0_3 Depth=1
	.loc	2 0 40                          ; standard.py:0:40
	s_or_b64 exec, exec, s[4:5]
	.loc	2 191 40                        ; standard.py:191:40 @[ softmax_online.py:18:27 ]
	s_waitcnt lgkmcnt(0)
	s_barrier
	ds_read_b32 v8, v3
.Ltmp31:
	.loc	1 19 30 is_stmt 1               ; softmax_online.py:19:30
	v_max_f32_e32 v12, v11, v11
.Ltmp32:
	.loc	2 293 36                        ; standard.py:293:36 @[ softmax_online.py:20:43 ]
	s_waitcnt lgkmcnt(0)
	s_barrier
.Ltmp33:
	.loc	1 19 30                         ; softmax_online.py:19:30
	v_max_f32_e32 v8, v8, v8
	v_max_f32_e32 v8, v12, v8
	.loc	1 20 54                         ; softmax_online.py:20:54
	v_sub_f32_e32 v0, v0, v8
	.loc	1 20 50 is_stmt 0               ; softmax_online.py:20:50
	v_mul_f32_e32 v12, 0x3fb8aa3b, v0
	v_cmp_gt_f32_e64 s[4:5], s18, v12
	.loc	1 20 54                         ; softmax_online.py:20:54
	v_sub_f32_e32 v1, v1, v8
	v_sub_f32_e32 v4, v4, v8
	.loc	1 20 50                         ; softmax_online.py:20:50
	v_cndmask_b32_e64 v12, 0, v7, s[4:5]
	v_fmac_f32_e32 v12, 0x3fb8aa3b, v0
	v_exp_f32_e32 v0, v12
	v_mul_f32_e32 v12, 0x3fb8aa3b, v1
	v_cmp_gt_f32_e64 s[8:9], s18, v12
	.loc	1 20 54                         ; softmax_online.py:20:54
	v_sub_f32_e32 v5, v5, v8
	.loc	1 20 50                         ; softmax_online.py:20:50
	s_nop 0
	v_cndmask_b32_e64 v12, 0, v7, s[8:9]
	v_fmac_f32_e32 v12, 0x3fb8aa3b, v1
	v_exp_f32_e32 v1, v12
	v_cndmask_b32_e64 v12, 0, v9, s[4:5]
	v_ldexp_f32 v0, v0, v12
	v_cndmask_b32_e64 v12, 0, v9, s[8:9]
	v_ldexp_f32 v1, v1, v12
	v_mul_f32_e32 v12, 0x3fb8aa3b, v4
	v_cmp_gt_f32_e64 s[4:5], s18, v12
.Ltmp34:
	.loc	2 263 15 is_stmt 1              ; standard.py:263:15 @[ standard.py:293:36 @[ softmax_online.py:20:43 ] ]
	v_add_f32_e32 v0, v0, v1
.Ltmp35:
	.loc	1 20 50                         ; softmax_online.py:20:50
	s_nop 0
	v_cndmask_b32_e64 v12, 0, v7, s[4:5]
	v_fmac_f32_e32 v12, 0x3fb8aa3b, v4
	v_exp_f32_e32 v4, v12
	v_mul_f32_e32 v12, 0x3fb8aa3b, v5
	v_cmp_gt_f32_e64 s[8:9], s18, v12
	s_nop 1
	v_cndmask_b32_e64 v12, 0, v7, s[8:9]
	v_fmac_f32_e32 v12, 0x3fb8aa3b, v5
	v_exp_f32_e32 v5, v12
	v_cndmask_b32_e64 v12, 0, v9, s[4:5]
	v_ldexp_f32 v4, v4, v12
	v_cndmask_b32_e64 v12, 0, v9, s[8:9]
	v_ldexp_f32 v5, v5, v12
.Ltmp36:
	.loc	2 263 15                        ; standard.py:263:15 @[ standard.py:293:36 @[ softmax_online.py:20:43 ] ]
	v_add_f32_e32 v0, v4, v0
	v_add_f32_e32 v0, v5, v0
	s_nop 1
	v_add_f32_dpp v0, v0, v0 row_shr:8 row_mask:0xf bank_mask:0xf bound_ctrl:1
	s_nop 1
	v_add_f32_dpp v0, v0, v0 row_shr:4 row_mask:0xf bank_mask:0xf bound_ctrl:1
	;; [unrolled: 2-line block ×4, first 2 shown]
.Ltmp37:
	.loc	2 293 36                        ; standard.py:293:36 @[ softmax_online.py:20:43 ]
	v_mov_b32_e32 v1, v0
	s_nop 1
	v_mov_b32_dpp v1, v1 row_bcast:15 row_mask:0xa bank_mask:0xf bound_ctrl:1
.Ltmp38:
	.loc	2 263 15                        ; standard.py:263:15 @[ standard.py:293:36 @[ softmax_online.py:20:43 ] ]
	v_add_f32_e32 v0, v1, v0
	s_nop 1
	v_add_f32_dpp v0, v0, v0 row_bcast:31 row_mask:0xf bank_mask:0xf bound_ctrl:1
.Ltmp39:
	.loc	2 293 36                        ; standard.py:293:36 @[ softmax_online.py:20:43 ]
	s_nop 0
	v_readlane_b32 s8, v0, 63
	s_and_saveexec_b64 s[4:5], vcc
; %bb.18:                               ;   in Loop: Header=BB0_3 Depth=1
	v_mov_b32_e32 v0, s6
	v_mov_b32_e32 v1, s8
	ds_write_b32 v0, v1
.Ltmp40:
; %bb.19:                               ;   in Loop: Header=BB0_3 Depth=1
	.loc	2 0 36 is_stmt 0                ; standard.py:0:36
	s_or_b64 exec, exec, s[4:5]
	.loc	1 20 43 is_stmt 1               ; softmax_online.py:20:43
	v_mov_b32_e32 v0, 0
.Ltmp41:
	.loc	2 293 36                        ; standard.py:293:36 @[ softmax_online.py:20:43 ]
	s_waitcnt lgkmcnt(0)
	s_barrier
	s_and_saveexec_b64 s[4:5], s[0:1]
; %bb.20:                               ;   in Loop: Header=BB0_3 Depth=1
	ds_read_b32 v0, v6
; %bb.21:                               ;   in Loop: Header=BB0_3 Depth=1
	.loc	2 0 36 is_stmt 0                ; standard.py:0:36
	s_or_b64 exec, exec, s[4:5]
	.loc	2 293 36                        ; standard.py:293:36 @[ softmax_online.py:20:43 ]
	s_waitcnt lgkmcnt(0)
	v_mov_b32_e32 v1, v0
	s_nop 1
	v_mov_b32_dpp v1, v1 quad_perm:[2,3,0,1] row_mask:0xf bank_mask:0xf
.Ltmp42:
	.loc	2 263 15 is_stmt 1              ; standard.py:263:15 @[ standard.py:293:36 @[ softmax_online.py:20:43 ] ]
	v_add_f32_e32 v0, v0, v1
.Ltmp43:
	.loc	2 293 36                        ; standard.py:293:36 @[ softmax_online.py:20:43 ]
	v_mov_b32_e32 v1, v0
	s_nop 1
	v_mov_b32_dpp v1, v1 quad_perm:[1,0,3,2] row_mask:0xf bank_mask:0xf
	s_and_saveexec_b64 s[4:5], s[16:17]
	s_cbranch_execz .LBB0_2
; %bb.22:                               ;   in Loop: Header=BB0_3 Depth=1
	.loc	2 0 36 is_stmt 0                ; standard.py:0:36
	v_add_f32_e32 v0, v0, v1
	.loc	2 293 36                        ; standard.py:293:36 @[ softmax_online.py:20:43 ]
	ds_write_b32 v6, v0
	s_branch .LBB0_2
.Ltmp44:
.LBB0_23:                               ; %.lr.ph5.preheader
	.loc	1 12 18 is_stmt 1               ; softmax_online.py:12:18
	s_add_u32 s8, s2, s12
	s_addc_u32 s9, s3, s13
	s_mov_b32 s12, 0
	s_mov_b32 s6, 0xc2fc0000
	v_mov_b32_e32 v9, 0x42800000
	v_not_b32_e32 v10, 63
	s_branch .LBB0_25
.LBB0_24:                               ;   in Loop: Header=BB0_25 Depth=1
	.loc	1 0 18 is_stmt 0                ; softmax_online.py:0:18
	s_or_b64 exec, exec, s[2:3]
	.loc	1 22 32 is_stmt 1               ; softmax_online.py:22:32
	s_addk_i32 s12, 0x400
	s_cmp_lt_i32 s12, s7
	s_cbranch_scc0 .LBB0_41
.LBB0_25:                               ; %.lr.ph5
                                        ; =>This Inner Loop Header: Depth=1
	.loc	1 23 21                         ; softmax_online.py:23:21
	v_add_u32_e32 v0, s12, v2
	.loc	1 25 20                         ; softmax_online.py:25:20
	v_mov_b32_e32 v13, 0xfc00
	.loc	1 24 22                         ; softmax_online.py:24:22
	v_cmp_gt_i32_e32 vcc, s7, v0
	v_mov_b32_e32 v1, v13
	.loc	1 25 20                         ; softmax_online.py:25:20
	s_and_saveexec_b64 s[0:1], vcc
	s_cbranch_execz .LBB0_27
; %bb.26:                               ;   in Loop: Header=BB0_25 Depth=1
	.loc	1 0 20 is_stmt 0                ; softmax_online.py:0:20
	v_ashrrev_i32_e32 v1, 31, v0
	v_lshl_add_u64 v[4:5], v[0:1], 1, s[10:11]
	.loc	1 25 20                         ; softmax_online.py:25:20
	global_load_ushort v1, v[4:5], off
.LBB0_27:                               ;   in Loop: Header=BB0_25 Depth=1
	.loc	1 0 20                          ; softmax_online.py:0:20
	s_or_b64 exec, exec, s[0:1]
	.loc	1 23 21 is_stmt 1               ; softmax_online.py:23:21
	v_add_u32_e32 v4, 0x100, v0
	.loc	1 25 32                         ; softmax_online.py:25:32
	s_ashr_i32 s13, s12, 31
	.loc	1 24 22                         ; softmax_online.py:24:22
	v_cmp_gt_i32_e64 s[4:5], s7, v4
	v_lshl_add_u64 v[4:5], s[12:13], 0, v[2:3]
	.loc	1 25 32                         ; softmax_online.py:25:32
	v_lshl_add_u64 v[6:7], v[4:5], 1, s[10:11]
	.loc	1 25 20 is_stmt 0               ; softmax_online.py:25:20
	s_and_saveexec_b64 s[0:1], s[4:5]
	s_cbranch_execz .LBB0_29
; %bb.28:                               ;   in Loop: Header=BB0_25 Depth=1
	global_load_ushort v13, v[6:7], off offset:512
.LBB0_29:                               ;   in Loop: Header=BB0_25 Depth=1
	.loc	1 0 20                          ; softmax_online.py:0:20
	s_or_b64 exec, exec, s[0:1]
	.loc	1 23 21 is_stmt 1               ; softmax_online.py:23:21
	v_add_u32_e32 v11, 0x200, v0
	.loc	1 24 22                         ; softmax_online.py:24:22
	v_cmp_gt_i32_e64 s[2:3], s7, v11
	.loc	1 25 20                         ; softmax_online.py:25:20
	v_mov_b32_e32 v11, 0xfc00
	v_mov_b32_e32 v14, v11
	s_and_saveexec_b64 s[0:1], s[2:3]
	s_cbranch_execz .LBB0_31
; %bb.30:                               ;   in Loop: Header=BB0_25 Depth=1
	global_load_ushort v14, v[6:7], off offset:1024
.LBB0_31:                               ;   in Loop: Header=BB0_25 Depth=1
	.loc	1 0 20 is_stmt 0                ; softmax_online.py:0:20
	s_or_b64 exec, exec, s[0:1]
	.loc	1 24 22 is_stmt 1               ; softmax_online.py:24:22
	v_add_u32_e32 v15, 0x300, v0
	v_cmp_gt_i32_e64 s[0:1], s7, v15
	.loc	1 25 20                         ; softmax_online.py:25:20
	s_and_saveexec_b64 s[14:15], s[0:1]
	s_cbranch_execnz .LBB0_36
; %bb.32:                               ;   in Loop: Header=BB0_25 Depth=1
	.loc	1 0 20 is_stmt 0                ; softmax_online.py:0:20
	s_or_b64 exec, exec, s[14:15]
	.loc	1 27 36 is_stmt 1               ; softmax_online.py:27:36
	s_and_saveexec_b64 s[14:15], vcc
	s_cbranch_execnz .LBB0_37
.LBB0_33:                               ;   in Loop: Header=BB0_25 Depth=1
	.loc	1 0 36 is_stmt 0                ; softmax_online.py:0:36
	s_or_b64 exec, exec, s[14:15]
	.loc	1 27 30                         ; softmax_online.py:27:30
	s_waitcnt vmcnt(0)
	v_lshl_add_u64 v[0:1], v[4:5], 1, s[8:9]
	.loc	1 27 36                         ; softmax_online.py:27:36
	s_and_saveexec_b64 s[14:15], s[4:5]
	s_cbranch_execnz .LBB0_38
.LBB0_34:                               ;   in Loop: Header=BB0_25 Depth=1
	.loc	1 0 36                          ; softmax_online.py:0:36
	s_or_b64 exec, exec, s[14:15]
	.loc	1 27 36                         ; softmax_online.py:27:36
	s_and_saveexec_b64 s[4:5], s[2:3]
	s_cbranch_execnz .LBB0_39
.LBB0_35:                               ;   in Loop: Header=BB0_25 Depth=1
	.loc	1 0 36                          ; softmax_online.py:0:36
	s_or_b64 exec, exec, s[4:5]
	.loc	1 27 36                         ; softmax_online.py:27:36
	s_and_saveexec_b64 s[2:3], s[0:1]
	s_cbranch_execz .LBB0_24
	s_branch .LBB0_40
.LBB0_36:                               ;   in Loop: Header=BB0_25 Depth=1
	.loc	1 25 20 is_stmt 1               ; softmax_online.py:25:20
	global_load_ushort v11, v[6:7], off offset:1536
	s_or_b64 exec, exec, s[14:15]
	.loc	1 27 36                         ; softmax_online.py:27:36
	s_and_saveexec_b64 s[14:15], vcc
	s_cbranch_execz .LBB0_33
.LBB0_37:                               ;   in Loop: Header=BB0_25 Depth=1
	.loc	1 26 23                         ; softmax_online.py:26:23
	s_waitcnt vmcnt(0)
	v_cvt_f32_f16_e32 v1, v1
	v_sub_f32_e32 v1, v1, v8
	.loc	1 26 19 is_stmt 0               ; softmax_online.py:26:19
	v_mul_f32_e32 v6, 0x3fb8aa3b, v1
	v_cmp_gt_f32_e32 vcc, s6, v6
	s_nop 1
	v_cndmask_b32_e32 v6, 0, v9, vcc
	v_fmac_f32_e32 v6, 0x3fb8aa3b, v1
	v_exp_f32_e32 v1, v6
	v_cndmask_b32_e32 v6, 0, v10, vcc
	v_ldexp_f32 v1, v1, v6
	.loc	1 26 28                         ; softmax_online.py:26:28
	v_div_scale_f32 v6, s[16:17], v12, v12, v1
	v_rcp_f32_e32 v7, v6
	v_div_scale_f32 v15, vcc, v1, v12, v1
	v_fma_f32 v16, -v6, v7, 1.0
	v_fmac_f32_e32 v7, v16, v7
	v_mul_f32_e32 v16, v15, v7
	v_fma_f32 v17, -v6, v16, v15
	v_fmac_f32_e32 v16, v17, v7
	v_fma_f32 v6, -v6, v16, v15
	v_div_fmas_f32 v6, v6, v7, v16
	v_div_fixup_f32 v1, v6, v12, v1
	v_cvt_f16_f32_e32 v6, v1
	v_ashrrev_i32_e32 v1, 31, v0
	v_lshl_add_u64 v[0:1], v[0:1], 1, s[8:9]
	.loc	1 27 36 is_stmt 1               ; softmax_online.py:27:36
	global_store_short v[0:1], v6, off
	s_or_b64 exec, exec, s[14:15]
	.loc	1 27 30 is_stmt 0               ; softmax_online.py:27:30
	v_lshl_add_u64 v[0:1], v[4:5], 1, s[8:9]
	.loc	1 27 36                         ; softmax_online.py:27:36
	s_and_saveexec_b64 s[14:15], s[4:5]
	s_cbranch_execz .LBB0_34
.LBB0_38:                               ;   in Loop: Header=BB0_25 Depth=1
	.loc	1 26 23 is_stmt 1               ; softmax_online.py:26:23
	v_cvt_f32_f16_e32 v4, v13
	v_sub_f32_e32 v4, v4, v8
	.loc	1 26 19 is_stmt 0               ; softmax_online.py:26:19
	v_mul_f32_e32 v5, 0x3fb8aa3b, v4
	v_cmp_gt_f32_e32 vcc, s6, v5
	s_nop 1
	v_cndmask_b32_e32 v5, 0, v9, vcc
	v_fmac_f32_e32 v5, 0x3fb8aa3b, v4
	v_exp_f32_e32 v4, v5
	v_cndmask_b32_e32 v5, 0, v10, vcc
	v_ldexp_f32 v4, v4, v5
	.loc	1 26 28                         ; softmax_online.py:26:28
	v_div_scale_f32 v5, s[4:5], v12, v12, v4
	v_rcp_f32_e32 v6, v5
	v_div_scale_f32 v7, vcc, v4, v12, v4
	v_fma_f32 v13, -v5, v6, 1.0
	v_fmac_f32_e32 v6, v13, v6
	v_mul_f32_e32 v13, v7, v6
	v_fma_f32 v15, -v5, v13, v7
	v_fmac_f32_e32 v13, v15, v6
	v_fma_f32 v5, -v5, v13, v7
	v_div_fmas_f32 v5, v5, v6, v13
	v_div_fixup_f32 v4, v5, v12, v4
	v_cvt_f16_f32_e32 v4, v4
	.loc	1 27 36 is_stmt 1               ; softmax_online.py:27:36
	global_store_short v[0:1], v4, off offset:512
	s_or_b64 exec, exec, s[14:15]
	s_and_saveexec_b64 s[4:5], s[2:3]
	s_cbranch_execz .LBB0_35
.LBB0_39:                               ;   in Loop: Header=BB0_25 Depth=1
	.loc	1 26 23                         ; softmax_online.py:26:23
	v_cvt_f32_f16_e32 v4, v14
	v_sub_f32_e32 v4, v4, v8
	.loc	1 26 19 is_stmt 0               ; softmax_online.py:26:19
	v_mul_f32_e32 v5, 0x3fb8aa3b, v4
	v_cmp_gt_f32_e32 vcc, s6, v5
	s_nop 1
	v_cndmask_b32_e32 v5, 0, v9, vcc
	v_fmac_f32_e32 v5, 0x3fb8aa3b, v4
	v_exp_f32_e32 v4, v5
	v_cndmask_b32_e32 v5, 0, v10, vcc
	v_ldexp_f32 v4, v4, v5
	.loc	1 26 28                         ; softmax_online.py:26:28
	v_div_scale_f32 v5, s[2:3], v12, v12, v4
	v_rcp_f32_e32 v6, v5
	v_div_scale_f32 v7, vcc, v4, v12, v4
	v_fma_f32 v13, -v5, v6, 1.0
	v_fmac_f32_e32 v6, v13, v6
	v_mul_f32_e32 v13, v7, v6
	v_fma_f32 v14, -v5, v13, v7
	v_fmac_f32_e32 v13, v14, v6
	v_fma_f32 v5, -v5, v13, v7
	v_div_fmas_f32 v5, v5, v6, v13
	v_div_fixup_f32 v4, v5, v12, v4
	v_cvt_f16_f32_e32 v4, v4
	.loc	1 27 36 is_stmt 1               ; softmax_online.py:27:36
	global_store_short v[0:1], v4, off offset:1024
	s_or_b64 exec, exec, s[4:5]
	s_and_saveexec_b64 s[2:3], s[0:1]
	s_cbranch_execz .LBB0_24
.LBB0_40:                               ;   in Loop: Header=BB0_25 Depth=1
	.loc	1 26 23                         ; softmax_online.py:26:23
	v_cvt_f32_f16_e32 v4, v11
	v_sub_f32_e32 v4, v4, v8
	.loc	1 26 19 is_stmt 0               ; softmax_online.py:26:19
	v_mul_f32_e32 v5, 0x3fb8aa3b, v4
	v_cmp_gt_f32_e32 vcc, s6, v5
	s_nop 1
	v_cndmask_b32_e32 v5, 0, v9, vcc
	v_fmac_f32_e32 v5, 0x3fb8aa3b, v4
	v_exp_f32_e32 v4, v5
	v_cndmask_b32_e32 v5, 0, v10, vcc
	v_ldexp_f32 v4, v4, v5
	.loc	1 26 28                         ; softmax_online.py:26:28
	v_div_scale_f32 v5, s[0:1], v12, v12, v4
	v_rcp_f32_e32 v6, v5
	v_div_scale_f32 v7, vcc, v4, v12, v4
	v_fma_f32 v11, -v5, v6, 1.0
	v_fmac_f32_e32 v6, v11, v6
	v_mul_f32_e32 v11, v7, v6
	v_fma_f32 v13, -v5, v11, v7
	v_fmac_f32_e32 v11, v13, v6
	v_fma_f32 v5, -v5, v11, v7
	v_div_fmas_f32 v5, v5, v6, v11
	v_div_fixup_f32 v4, v5, v12, v4
	v_cvt_f16_f32_e32 v4, v4
	.loc	1 27 36 is_stmt 1               ; softmax_online.py:27:36
	global_store_short v[0:1], v4, off offset:1536
	s_branch .LBB0_24
.LBB0_41:                               ; %._crit_edge
	.loc	1 22 4                          ; softmax_online.py:22:4
	s_endpgm
.Ltmp45:
	.section	.rodata,"a",@progbits
	.p2align	6, 0x0
	.amdhsa_kernel online_softmax_kernel
		.amdhsa_group_segment_fixed_size 0
		.amdhsa_private_segment_fixed_size 0
		.amdhsa_kernarg_size 40
		.amdhsa_user_sgpr_count 12
		.amdhsa_user_sgpr_dispatch_ptr 0
		.amdhsa_user_sgpr_queue_ptr 0
		.amdhsa_user_sgpr_kernarg_segment_ptr 1
		.amdhsa_user_sgpr_dispatch_id 0
		.amdhsa_user_sgpr_kernarg_preload_length 10
		.amdhsa_user_sgpr_kernarg_preload_offset 0
		.amdhsa_user_sgpr_private_segment_size 0
		.amdhsa_uses_dynamic_stack 0
		.amdhsa_enable_private_segment 0
		.amdhsa_system_sgpr_workgroup_id_x 1
		.amdhsa_system_sgpr_workgroup_id_y 0
		.amdhsa_system_sgpr_workgroup_id_z 0
		.amdhsa_system_sgpr_workgroup_info 0
		.amdhsa_system_vgpr_workitem_id 0
		.amdhsa_next_free_vgpr 18
		.amdhsa_next_free_sgpr 19
		.amdhsa_accum_offset 20
		.amdhsa_reserve_vcc 1
		.amdhsa_reserve_xnack_mask 1
		.amdhsa_float_round_mode_32 0
		.amdhsa_float_round_mode_16_64 0
		.amdhsa_float_denorm_mode_32 3
		.amdhsa_float_denorm_mode_16_64 3
		.amdhsa_dx10_clamp 1
		.amdhsa_ieee_mode 1
		.amdhsa_fp16_overflow 0
		.amdhsa_tg_split 0
		.amdhsa_exception_fp_ieee_invalid_op 0
		.amdhsa_exception_fp_denorm_src 0
		.amdhsa_exception_fp_ieee_div_zero 0
		.amdhsa_exception_fp_ieee_overflow 0
		.amdhsa_exception_fp_ieee_underflow 0
		.amdhsa_exception_fp_ieee_inexact 0
		.amdhsa_exception_int_div_zero 0
	.end_amdhsa_kernel
	.text
.Lfunc_end0:
	.size	online_softmax_kernel, .Lfunc_end0-online_softmax_kernel
	.cfi_endproc
                                        ; -- End function
	.set online_softmax_kernel.num_vgpr, 18
	.set online_softmax_kernel.num_agpr, 0
	.set online_softmax_kernel.numbered_sgpr, 19
	.set online_softmax_kernel.num_named_barrier, 0
	.set online_softmax_kernel.private_seg_size, 0
	.set online_softmax_kernel.uses_vcc, 1
	.set online_softmax_kernel.uses_flat_scratch, 0
	.set online_softmax_kernel.has_dyn_sized_stack, 0
	.set online_softmax_kernel.has_recursion, 0
	.set online_softmax_kernel.has_indirect_call, 0
	.section	.AMDGPU.csdata,"",@progbits
; Kernel info:
; codeLenInByte = 2416
; TotalNumSgprs: 25
; NumVgprs: 18
; NumAgprs: 0
; TotalNumVgprs: 18
; ScratchSize: 0
; MemoryBound: 0
; FloatMode: 240
; IeeeMode: 1
; LDSByteSize: 0 bytes/workgroup (compile time only)
; SGPRBlocks: 3
; VGPRBlocks: 2
; NumSGPRsForWavesPerEU: 25
; NumVGPRsForWavesPerEU: 18
; AccumOffset: 20
; Occupancy: 8
; WaveLimiterHint : 0
; COMPUTE_PGM_RSRC2:SCRATCH_EN: 0
; COMPUTE_PGM_RSRC2:USER_SGPR: 12
; COMPUTE_PGM_RSRC2:TRAP_HANDLER: 0
; COMPUTE_PGM_RSRC2:TGID_X_EN: 1
; COMPUTE_PGM_RSRC2:TGID_Y_EN: 0
; COMPUTE_PGM_RSRC2:TGID_Z_EN: 0
; COMPUTE_PGM_RSRC2:TIDIG_COMP_CNT: 0
; COMPUTE_PGM_RSRC3_GFX90A:ACCUM_OFFSET: 4
; COMPUTE_PGM_RSRC3_GFX90A:TG_SPLIT: 0
	.text
	.p2alignl 6, 3212836864
	.fill 256, 4, 3212836864
	.section	.AMDGPU.gpr_maximums,"",@progbits
	.set amdgpu.max_num_vgpr, 0
	.set amdgpu.max_num_agpr, 0
	.set amdgpu.max_num_sgpr, 0
	.set amdgpu.max_num_named_barrier, 0
	.text
	.section	.debug_abbrev,"",@progbits
	.byte	1                               ; Abbreviation Code
	.byte	17                              ; DW_TAG_compile_unit
	.byte	1                               ; DW_CHILDREN_yes
	.byte	37                              ; DW_AT_producer
	.byte	14                              ; DW_FORM_strp
	.byte	19                              ; DW_AT_language
	.byte	5                               ; DW_FORM_data2
	.byte	3                               ; DW_AT_name
	.byte	14                              ; DW_FORM_strp
	.byte	16                              ; DW_AT_stmt_list
	.byte	23                              ; DW_FORM_sec_offset
	.byte	27                              ; DW_AT_comp_dir
	.byte	14                              ; DW_FORM_strp
	.byte	17                              ; DW_AT_low_pc
	.byte	1                               ; DW_FORM_addr
	.byte	18                              ; DW_AT_high_pc
	.byte	6                               ; DW_FORM_data4
	.byte	0                               ; EOM(1)
	.byte	0                               ; EOM(2)
	.byte	2                               ; Abbreviation Code
	.byte	46                              ; DW_TAG_subprogram
	.byte	0                               ; DW_CHILDREN_no
	.byte	3                               ; DW_AT_name
	.byte	14                              ; DW_FORM_strp
	.byte	32                              ; DW_AT_inline
	.byte	11                              ; DW_FORM_data1
	.byte	0                               ; EOM(1)
	.byte	0                               ; EOM(2)
	.byte	3                               ; Abbreviation Code
	.byte	46                              ; DW_TAG_subprogram
	.byte	1                               ; DW_CHILDREN_yes
	.byte	17                              ; DW_AT_low_pc
	.byte	1                               ; DW_FORM_addr
	.byte	18                              ; DW_AT_high_pc
	.byte	6                               ; DW_FORM_data4
	.byte	49                              ; DW_AT_abstract_origin
	.byte	19                              ; DW_FORM_ref4
	.byte	0                               ; EOM(1)
	.byte	0                               ; EOM(2)
	.byte	4                               ; Abbreviation Code
	.byte	29                              ; DW_TAG_inlined_subroutine
	.byte	1                               ; DW_CHILDREN_yes
	.byte	49                              ; DW_AT_abstract_origin
	.byte	19                              ; DW_FORM_ref4
	.byte	85                              ; DW_AT_ranges
	.byte	23                              ; DW_FORM_sec_offset
	.byte	88                              ; DW_AT_call_file
	.byte	11                              ; DW_FORM_data1
	.byte	89                              ; DW_AT_call_line
	.byte	11                              ; DW_FORM_data1
	.byte	87                              ; DW_AT_call_column
	.byte	11                              ; DW_FORM_data1
	.byte	0                               ; EOM(1)
	.byte	0                               ; EOM(2)
	.byte	5                               ; Abbreviation Code
	.byte	29                              ; DW_TAG_inlined_subroutine
	.byte	0                               ; DW_CHILDREN_no
	.byte	49                              ; DW_AT_abstract_origin
	.byte	19                              ; DW_FORM_ref4
	.byte	85                              ; DW_AT_ranges
	.byte	23                              ; DW_FORM_sec_offset
	.byte	88                              ; DW_AT_call_file
	.byte	11                              ; DW_FORM_data1
	.byte	89                              ; DW_AT_call_line
	.byte	5                               ; DW_FORM_data2
	.byte	87                              ; DW_AT_call_column
	.byte	11                              ; DW_FORM_data1
	.byte	0                               ; EOM(1)
	.byte	0                               ; EOM(2)
	.byte	6                               ; Abbreviation Code
	.byte	29                              ; DW_TAG_inlined_subroutine
	.byte	0                               ; DW_CHILDREN_no
	.byte	49                              ; DW_AT_abstract_origin
	.byte	19                              ; DW_FORM_ref4
	.byte	85                              ; DW_AT_ranges
	.byte	23                              ; DW_FORM_sec_offset
	.byte	88                              ; DW_AT_call_file
	.byte	11                              ; DW_FORM_data1
	.byte	89                              ; DW_AT_call_line
	.byte	11                              ; DW_FORM_data1
	.byte	87                              ; DW_AT_call_column
	.byte	11                              ; DW_FORM_data1
	.byte	0                               ; EOM(1)
	.byte	0                               ; EOM(2)
	;; [unrolled: 1-line block ×3, first 2 shown]
	.section	.debug_info,"",@progbits
.Lcu_begin0:
	.long	.Ldebug_info_end0-.Ldebug_info_start0 ; Length of Unit
.Ldebug_info_start0:
	.short	4                               ; DWARF version number
	.long	.debug_abbrev                   ; Offset Into Abbrev. Section
	.byte	8                               ; Address Size (in bytes)
	.byte	1                               ; Abbrev [1] 0xb:0x6b DW_TAG_compile_unit
	.long	.Linfo_string0                  ; DW_AT_producer
	.short	2                               ; DW_AT_language
	.long	.Linfo_string1                  ; DW_AT_name
	.long	.Lline_table_start0             ; DW_AT_stmt_list
	.long	.Linfo_string2                  ; DW_AT_comp_dir
	.quad	.Lfunc_begin0                   ; DW_AT_low_pc
	.long	.Lfunc_end0-.Lfunc_begin0       ; DW_AT_high_pc
	.byte	2                               ; Abbrev [2] 0x2a:0x6 DW_TAG_subprogram
	.long	.Linfo_string3                  ; DW_AT_name
	.byte	1                               ; DW_AT_inline
	.byte	3                               ; Abbrev [3] 0x30:0x45 DW_TAG_subprogram
	.quad	.Lfunc_begin0                   ; DW_AT_low_pc
	.long	.Lfunc_end0-.Lfunc_begin0       ; DW_AT_high_pc
	.long	42                              ; DW_AT_abstract_origin
	.byte	4                               ; Abbrev [4] 0x41:0x1a DW_TAG_inlined_subroutine
	.long	42                              ; DW_AT_abstract_origin
	.long	.Ldebug_ranges0                 ; DW_AT_ranges
	.byte	1                               ; DW_AT_call_file
	.byte	20                              ; DW_AT_call_line
	.byte	43                              ; DW_AT_call_column
	.byte	5                               ; Abbrev [5] 0x4d:0xd DW_TAG_inlined_subroutine
	.long	42                              ; DW_AT_abstract_origin
	.long	.Ldebug_ranges1                 ; DW_AT_ranges
	.byte	2                               ; DW_AT_call_file
	.short	293                             ; DW_AT_call_line
	.byte	36                              ; DW_AT_call_column
	.byte	0                               ; End Of Children Mark
	.byte	4                               ; Abbrev [4] 0x5b:0x19 DW_TAG_inlined_subroutine
	.long	42                              ; DW_AT_abstract_origin
	.long	.Ldebug_ranges2                 ; DW_AT_ranges
	.byte	1                               ; DW_AT_call_file
	.byte	18                              ; DW_AT_call_line
	.byte	27                              ; DW_AT_call_column
	.byte	6                               ; Abbrev [6] 0x67:0xc DW_TAG_inlined_subroutine
	.long	42                              ; DW_AT_abstract_origin
	.long	.Ldebug_ranges3                 ; DW_AT_ranges
	.byte	2                               ; DW_AT_call_file
	.byte	191                             ; DW_AT_call_line
	.byte	40                              ; DW_AT_call_column
	.byte	0                               ; End Of Children Mark
	.byte	0                               ; End Of Children Mark
	;; [unrolled: 1-line block ×3, first 2 shown]
.Ldebug_info_end0:
	.section	.debug_ranges,"",@progbits
.Ldebug_ranges0:
	.quad	.Ltmp2-.Lfunc_begin0
	.quad	.Ltmp3-.Lfunc_begin0
	;; [unrolled: 1-line block ×14, first 2 shown]
	.quad	0
	.quad	0
.Ldebug_ranges1:
	.quad	.Ltmp34-.Lfunc_begin0
	.quad	.Ltmp35-.Lfunc_begin0
	;; [unrolled: 1-line block ×8, first 2 shown]
	.quad	0
	.quad	0
.Ldebug_ranges2:
	.quad	.Ltmp8-.Lfunc_begin0
	.quad	.Ltmp25-.Lfunc_begin0
	;; [unrolled: 1-line block ×4, first 2 shown]
	.quad	0
	.quad	0
.Ldebug_ranges3:
	.quad	.Ltmp9-.Lfunc_begin0
	.quad	.Ltmp10-.Lfunc_begin0
	;; [unrolled: 1-line block ×20, first 2 shown]
	.quad	0
	.quad	0
	.section	.debug_str,"MS",@progbits,1
.Linfo_string0:
	.asciz	"triton"                        ; string offset=0
.Linfo_string1:
	.asciz	"softmax_online.py"             ; string offset=7
.Linfo_string2:
	.asciz	"/root/src/amdgpu-assembly/repos/triton-lang__triton-aot" ; string offset=25
.Linfo_string3:
	.asciz	"online_softmax_kernel"         ; string offset=81
	.section	".note.GNU-stack","",@progbits
	.amdgpu_metadata
---
amdhsa.kernels:
  - .agpr_count:     0
    .args:
      - .address_space:  global
        .offset:         0
        .size:           8
        .value_kind:     global_buffer
      - .address_space:  global
        .offset:         8
        .size:           8
        .value_kind:     global_buffer
      - .offset:         16
        .size:           4
        .value_kind:     by_value
      - .offset:         20
        .size:           4
        .value_kind:     by_value
      - .address_space:  global
        .offset:         24
        .size:           8
        .value_kind:     global_buffer
      - .address_space:  global
        .offset:         32
        .size:           8
        .value_kind:     global_buffer
    .group_segment_fixed_size: 0
    .kernarg_segment_align: 8
    .kernarg_segment_size: 40
    .max_flat_workgroup_size: 256
    .name:           online_softmax_kernel
    .private_segment_fixed_size: 0
    .sgpr_count:     25
    .sgpr_spill_count: 0
    .symbol:         online_softmax_kernel.kd
    .uniform_work_group_size: 1
    .uses_dynamic_stack: false
    .vgpr_count:     18
    .vgpr_spill_count: 0
    .wavefront_size: 64
amdhsa.target:   amdgcn-amd-amdhsa--gfx950
amdhsa.version:
  - 1
  - 2
...

	.end_amdgpu_metadata
	.section	.debug_line,"",@progbits
.Lline_table_start0:
